;; amdgpu-corpus repo=zjin-lcf/HeCBench kind=compiled arch=gfx1250 opt=O3
	.amdgcn_target "amdgcn-amd-amdhsa--gfx1250"
	.amdhsa_code_object_version 6
	.text
	.protected	_Z26MurmurHash3_x64_128_kernelPKhPKjS2_Pmj ; -- Begin function _Z26MurmurHash3_x64_128_kernelPKhPKjS2_Pmj
	.globl	_Z26MurmurHash3_x64_128_kernelPKhPKjS2_Pmj
	.p2align	8
	.type	_Z26MurmurHash3_x64_128_kernelPKhPKjS2_Pmj,@function
_Z26MurmurHash3_x64_128_kernelPKhPKjS2_Pmj: ; @_Z26MurmurHash3_x64_128_kernelPKhPKjS2_Pmj
; %bb.0:
	s_clause 0x1
	s_load_b32 s2, s[0:1], 0x34
	s_load_b32 s3, s[0:1], 0x20
	s_bfe_u32 s4, ttmp6, 0x4000c
	s_and_b32 s5, ttmp6, 15
	s_add_co_i32 s4, s4, 1
	s_getreg_b32 s6, hwreg(HW_REG_IB_STS2, 6, 4)
	s_mul_i32 s4, ttmp9, s4
	s_delay_alu instid0(SALU_CYCLE_1) | instskip(SKIP_4) | instid1(SALU_CYCLE_1)
	s_add_co_i32 s5, s5, s4
	s_wait_kmcnt 0x0
	s_and_b32 s2, s2, 0xffff
	s_cmp_eq_u32 s6, 0
	s_cselect_b32 s4, ttmp9, s5
	v_mad_u32 v0, s4, s2, v0
	s_mov_b32 s2, exec_lo
	s_delay_alu instid0(VALU_DEP_1)
	v_cmpx_gt_u32_e64 s3, v0
	s_cbranch_execz .LBB0_36
; %bb.1:
	s_load_b256 s[4:11], s[0:1], 0x0
	v_mov_b32_e32 v1, 0
	s_wait_xcnt 0x0
	s_mov_b32 s0, exec_lo
	s_wait_kmcnt 0x0
	s_clause 0x1
	global_load_b32 v14, v0, s[8:9] scale_offset
	global_load_b32 v2, v0, s[6:7] scale_offset
	v_mov_b32_e32 v3, v1
	v_mov_b64_e32 v[4:5], v[0:1]
	s_wait_loadcnt 0x0
	s_delay_alu instid0(VALU_DEP_2)
	v_add_nc_u64_e32 v[6:7], s[4:5], v[2:3]
	v_mov_b64_e32 v[2:3], v[0:1]
	v_cmpx_lt_u32_e32 15, v14
	s_cbranch_execz .LBB0_5
; %bb.2:
	s_delay_alu instid0(VALU_DEP_3)
	v_add_nc_u64_e32 v[8:9], 14, v[6:7]
	v_mov_b64_e32 v[2:3], v[0:1]
	v_mov_b64_e32 v[4:5], v[0:1]
	v_lshrrev_b32_e32 v10, 4, v14
	s_mov_b32 s1, 0
.LBB0_3:                                ; =>This Inner Loop Header: Depth=1
	s_clause 0x1
	global_load_b128 v[16:19], v[8:9], off offset:-14
	global_load_b32 v1, v[8:9], off offset:-14
	s_wait_xcnt 0x0
	v_add_nc_u64_e32 v[8:9], 16, v[8:9]
	v_add_nc_u32_e32 v10, -1, v10
	s_delay_alu instid0(VALU_DEP_1)
	v_cmp_eq_u32_e32 vcc_lo, 0, v10
	s_or_b32 s1, vcc_lo, s1
	s_wait_loadcnt 0x1
	v_and_b32_e32 v11, 0xff, v17
	v_and_b32_e32 v12, 0xff00, v17
	v_bfe_u32 v13, v17, 16, 8
	v_and_b32_e32 v15, 0xff000000, v17
	v_or3_b32 v18, v18, 0, 0
	s_delay_alu instid0(VALU_DEP_3) | instskip(SKIP_3) | instid1(VALU_DEP_3)
	v_dual_lshlrev_b32 v13, 16, v13 :: v_dual_bitop2_b32 v11, v11, v12 bitop3:0x54
	s_wait_loadcnt 0x0
	v_or3_b32 v12, v1, 0, 0
	v_bfe_u32 v1, v19, 8, 8
	v_or3_b32 v13, v11, v13, v15
	v_and_b32_e32 v11, 0xff, v19
	v_bfe_u32 v15, v19, 16, 8
	s_delay_alu instid0(VALU_DEP_4) | instskip(NEXT) | instid1(VALU_DEP_4)
	v_lshlrev_b32_e32 v1, 8, v1
	v_mul_u64_e32 v[16:17], 0x87c37b91114253d5, v[12:13]
	v_and_b32_e32 v16, 0xff000000, v19
	s_delay_alu instid0(VALU_DEP_3) | instskip(SKIP_1) | instid1(VALU_DEP_2)
	v_dual_lshlrev_b32 v15, 16, v15 :: v_dual_bitop2_b32 v1, v11, v1 bitop3:0x54
	v_mul_u64_e32 v[12:13], 0x88a129ea80000000, v[12:13]
	v_or3_b32 v19, v1, v15, v16
	s_delay_alu instid0(VALU_DEP_1) | instskip(SKIP_2) | instid1(VALU_DEP_3)
	v_mul_u64_e32 v[20:21], 0x4cf5ad432745937f, v[18:19]
	v_lshrrev_b32_e32 v1, 1, v17
	v_mul_u64_e32 v[16:17], 0x4e8b26fe00000000, v[18:19]
	v_lshrrev_b64 v[18:19], 31, v[20:21]
	s_delay_alu instid0(VALU_DEP_1) | instskip(NEXT) | instid1(VALU_DEP_4)
	v_or_b32_e32 v17, v19, v17
	v_or_b32_e32 v12, v1, v12
	s_delay_alu instid0(VALU_DEP_3) | instskip(NEXT) | instid1(VALU_DEP_2)
	v_or_b32_e32 v16, v18, v16
	v_mul_u64_e32 v[12:13], 0x4cf5ad432745937f, v[12:13]
	s_delay_alu instid0(VALU_DEP_2) | instskip(NEXT) | instid1(VALU_DEP_2)
	v_mul_u64_e32 v[16:17], 0x87c37b91114253d5, v[16:17]
	v_xor_b32_e32 v3, v13, v3
	s_delay_alu instid0(VALU_DEP_1) | instskip(NEXT) | instid1(VALU_DEP_1)
	v_dual_lshrrev_b32 v1, 5, v3 :: v_dual_bitop2_b32 v2, v12, v2 bitop3:0x14
	v_lshlrev_b64_e32 v[12:13], 27, v[2:3]
	s_delay_alu instid0(VALU_DEP_1) | instskip(NEXT) | instid1(VALU_DEP_1)
	v_or_b32_e32 v12, v12, v1
	v_add_nc_u64_e32 v[12:13], v[12:13], v[4:5]
	v_xor_b32_e32 v5, v17, v5
	s_delay_alu instid0(VALU_DEP_1) | instskip(NEXT) | instid1(VALU_DEP_3)
	v_dual_lshrrev_b32 v1, 1, v5 :: v_dual_bitop2_b32 v4, v16, v4 bitop3:0x14
	v_mad_nc_u64_u32 v[2:3], v12, 5, 0x52dce729
	s_delay_alu instid0(VALU_DEP_2) | instskip(NEXT) | instid1(VALU_DEP_1)
	v_lshlrev_b64_e32 v[16:17], 31, v[4:5]
	v_or_b32_e32 v16, v16, v1
	s_delay_alu instid0(VALU_DEP_3) | instskip(NEXT) | instid1(VALU_DEP_1)
	v_mad_u32 v3, v13, 5, v3
	v_add_nc_u64_e32 v[12:13], v[16:17], v[2:3]
	s_delay_alu instid0(VALU_DEP_1) | instskip(NEXT) | instid1(VALU_DEP_1)
	v_mad_nc_u64_u32 v[4:5], v12, 5, 0x38495ab5
	v_mad_u32 v5, v13, 5, v5
	s_and_not1_b32 exec_lo, exec_lo, s1
	s_cbranch_execnz .LBB0_3
; %bb.4:
	s_or_b32 exec_lo, exec_lo, s1
.LBB0_5:
	s_delay_alu instid0(SALU_CYCLE_1)
	s_or_b32 exec_lo, exec_lo, s0
	v_dual_mov_b32 v9, 0 :: v_dual_bitop2_b32 v8, -16, v14 bitop3:0x40
	v_and_b32_e32 v1, 15, v14
	s_mov_b32 s0, 0
	s_mov_b32 s2, 0
	s_mov_b32 s1, exec_lo
	v_add_nc_u64_e32 v[6:7], v[6:7], v[8:9]
                                        ; implicit-def: $vgpr10_vgpr11
                                        ; implicit-def: $vgpr8_vgpr9
	v_cmpx_lt_i32_e32 7, v1
	s_xor_b32 s1, exec_lo, s1
	s_cbranch_execz .LBB0_15
; %bb.6:
	s_mov_b32 s4, 0
	s_mov_b32 s3, exec_lo
                                        ; implicit-def: $vgpr8_vgpr9
	v_cmpx_lt_i32_e32 11, v1
	s_xor_b32 s3, exec_lo, s3
	s_cbranch_execnz .LBB0_45
; %bb.7:
	s_or_saveexec_b32 s5, s3
	s_mov_b32 s3, 0
	s_xor_b32 exec_lo, exec_lo, s5
	s_cbranch_execnz .LBB0_50
.LBB0_8:
	s_or_b32 exec_lo, exec_lo, s5
	v_mov_b64_e32 v[10:11], 0
	s_and_saveexec_b32 s5, s4
	s_cbranch_execz .LBB0_10
.LBB0_9:
	global_load_u8 v10, v[6:7], off offset:10
	s_or_b32 s2, s2, exec_lo
	s_wait_loadcnt 0x0
	v_lshlrev_b32_e32 v10, 16, v10
	s_delay_alu instid0(VALU_DEP_1) | instskip(NEXT) | instid1(VALU_DEP_1)
	v_xor_b32_e32 v8, v10, v8
	v_mov_b64_e32 v[10:11], v[8:9]
.LBB0_10:
	s_or_b32 exec_lo, exec_lo, s5
	s_mov_b32 s4, 0
	s_and_saveexec_b32 s5, s2
	s_delay_alu instid0(SALU_CYCLE_1)
	s_xor_b32 s2, exec_lo, s5
	s_cbranch_execnz .LBB0_53
; %bb.11:
	s_or_b32 exec_lo, exec_lo, s2
	s_and_saveexec_b32 s2, s3
	s_cbranch_execnz .LBB0_54
.LBB0_12:
	s_or_b32 exec_lo, exec_lo, s2
	v_mov_b64_e32 v[8:9], v[4:5]
	s_and_saveexec_b32 s2, s4
	s_cbranch_execz .LBB0_14
.LBB0_13:
	global_load_u8 v8, v[6:7], off offset:8
	s_wait_loadcnt 0x0
	v_and_b32_e32 v8, 0xffff, v8
	s_delay_alu instid0(VALU_DEP_1) | instskip(NEXT) | instid1(VALU_DEP_1)
	v_xor_b32_e32 v10, v10, v8
	v_mul_u64_e32 v[8:9], 0x4cf5ad432745937f, v[10:11]
	v_mul_u64_e32 v[10:11], 0x4e8b26fe00000000, v[10:11]
	s_delay_alu instid0(VALU_DEP_2) | instskip(NEXT) | instid1(VALU_DEP_1)
	v_lshrrev_b64 v[8:9], 31, v[8:9]
	v_or_b32_e32 v9, v9, v11
	s_delay_alu instid0(VALU_DEP_2) | instskip(NEXT) | instid1(VALU_DEP_1)
	v_or_b32_e32 v8, v8, v10
	v_mul_u64_e32 v[8:9], 0x87c37b91114253d5, v[8:9]
	s_delay_alu instid0(VALU_DEP_1) | instskip(NEXT) | instid1(VALU_DEP_2)
	v_xor_b32_e32 v9, v9, v5
	v_xor_b32_e32 v8, v8, v4
.LBB0_14:
	s_or_b32 exec_lo, exec_lo, s2
	global_load_u8 v10, v[6:7], off offset:7
	s_mov_b32 s2, exec_lo
	s_wait_loadcnt 0x0
	v_dual_mov_b32 v10, 0 :: v_dual_lshlrev_b32 v11, 24, v10
.LBB0_15:
	s_or_saveexec_b32 s3, s1
	s_mov_b32 s4, 0
	s_mov_b32 s1, 0
	s_xor_b32 exec_lo, exec_lo, s3
	s_cbranch_execz .LBB0_21
; %bb.16:
	s_mov_b32 s5, 0
	s_mov_b32 s4, -1
	s_mov_b32 s6, s2
	s_mov_b32 s7, 0
	s_mov_b32 s0, exec_lo
	v_cmpx_lt_i32_e32 3, v1
	s_cbranch_execz .LBB0_20
; %bb.17:
	s_mov_b32 s6, -1
	s_mov_b32 s5, s2
	s_mov_b32 s4, exec_lo
	v_cmpx_lt_i32_e32 5, v1
; %bb.18:
	v_cmp_lt_i32_e32 vcc_lo, 6, v1
	s_and_not1_b32 s5, s2, exec_lo
	s_mov_b32 s1, exec_lo
	s_xor_b32 s6, exec_lo, -1
	s_and_b32 s7, vcc_lo, exec_lo
	s_delay_alu instid0(SALU_CYCLE_1)
	s_or_b32 s5, s5, s7
; %bb.19:
	s_or_b32 exec_lo, exec_lo, s4
	s_delay_alu instid0(SALU_CYCLE_1)
	s_and_b32 s7, s6, exec_lo
	s_and_not1_b32 s6, s2, exec_lo
	s_and_b32 s8, s5, exec_lo
	s_xor_b32 s4, exec_lo, -1
	s_and_b32 s5, s1, exec_lo
	s_or_b32 s6, s6, s8
.LBB0_20:
	s_or_b32 exec_lo, exec_lo, s0
	v_mov_b64_e32 v[10:11], 0
	v_mov_b64_e32 v[8:9], v[4:5]
	s_and_not1_b32 s2, s2, exec_lo
	s_and_b32 s6, s6, exec_lo
	s_and_b32 s1, s4, exec_lo
	;; [unrolled: 1-line block ×4, first 2 shown]
	s_or_b32 s2, s2, s6
.LBB0_21:
	s_or_b32 exec_lo, exec_lo, s3
	v_mov_b64_e32 v[12:13], 0
	s_and_saveexec_b32 s3, s2
	s_cbranch_execz .LBB0_23
; %bb.22:
	global_load_u8 v12, v[6:7], off offset:6
	s_or_b32 s0, s0, exec_lo
	s_wait_loadcnt 0x0
	v_lshlrev_b32_e32 v12, 16, v12
	s_delay_alu instid0(VALU_DEP_1) | instskip(NEXT) | instid1(VALU_DEP_1)
	v_or_b32_e32 v11, v12, v11
	v_mov_b64_e32 v[12:13], v[10:11]
.LBB0_23:
	s_or_b32 exec_lo, exec_lo, s3
	s_mov_b32 s3, 0
	s_mov_b32 s2, 0
	s_and_saveexec_b32 s5, s0
	s_delay_alu instid0(SALU_CYCLE_1)
	s_xor_b32 s0, exec_lo, s5
	s_cbranch_execnz .LBB0_37
; %bb.24:
	s_or_b32 exec_lo, exec_lo, s0
	s_and_saveexec_b32 s0, s4
	s_cbranch_execnz .LBB0_38
.LBB0_25:
	s_or_b32 exec_lo, exec_lo, s0
	v_mov_b64_e32 v[10:11], 0
	s_and_saveexec_b32 s0, s2
	s_cbranch_execz .LBB0_27
.LBB0_26:
	global_load_u8 v10, v[6:7], off offset:4
	s_or_b32 s3, s3, exec_lo
	s_wait_loadcnt 0x0
	v_xor_b32_e32 v13, v10, v13
	s_delay_alu instid0(VALU_DEP_1)
	v_mov_b64_e32 v[10:11], v[12:13]
.LBB0_27:
	s_or_b32 exec_lo, exec_lo, s0
	s_mov_b32 s4, 0
	s_mov_b32 s2, 0
	s_and_saveexec_b32 s0, s3
	s_delay_alu instid0(SALU_CYCLE_1)
	s_xor_b32 s0, exec_lo, s0
	s_cbranch_execnz .LBB0_39
; %bb.28:
	s_or_b32 exec_lo, exec_lo, s0
	s_mov_b32 s0, 0
	s_and_saveexec_b32 s3, s1
	s_cbranch_execnz .LBB0_40
.LBB0_29:
	s_or_b32 exec_lo, exec_lo, s3
	v_mov_b64_e32 v[12:13], 0
	s_and_saveexec_b32 s1, s2
	s_cbranch_execz .LBB0_31
.LBB0_30:
	global_load_u8 v12, v[6:7], off offset:2
	s_or_b32 s4, s4, exec_lo
	s_wait_loadcnt 0x0
	v_lshlrev_b32_e32 v12, 16, v12
	s_delay_alu instid0(VALU_DEP_1) | instskip(NEXT) | instid1(VALU_DEP_1)
	v_xor_b32_e32 v10, v12, v10
	v_mov_b64_e32 v[12:13], v[10:11]
.LBB0_31:
	s_or_b32 exec_lo, exec_lo, s1
	s_mov_b32 s1, 0
	s_and_saveexec_b32 s2, s4
	s_delay_alu instid0(SALU_CYCLE_1)
	s_xor_b32 s2, exec_lo, s2
	s_cbranch_execnz .LBB0_43
; %bb.32:
	s_or_b32 exec_lo, exec_lo, s2
	s_and_saveexec_b32 s2, s0
	s_cbranch_execnz .LBB0_44
.LBB0_33:
	s_or_b32 exec_lo, exec_lo, s2
	s_and_saveexec_b32 s0, s1
	s_cbranch_execz .LBB0_35
.LBB0_34:
	global_load_u8 v1, v[6:7], off
	s_wait_loadcnt 0x0
	v_and_b32_e32 v1, 0xffff, v1
	s_delay_alu instid0(VALU_DEP_1) | instskip(NEXT) | instid1(VALU_DEP_1)
	v_xor_b32_e32 v12, v12, v1
	v_mul_u64_e32 v[4:5], 0x87c37b91114253d5, v[12:13]
	v_mul_u64_e32 v[6:7], 0x88a129ea80000000, v[12:13]
	s_delay_alu instid0(VALU_DEP_2) | instskip(NEXT) | instid1(VALU_DEP_1)
	v_lshrrev_b32_e32 v1, 1, v5
	v_or_b32_e32 v6, v1, v6
	s_delay_alu instid0(VALU_DEP_1) | instskip(NEXT) | instid1(VALU_DEP_1)
	v_mul_u64_e32 v[4:5], 0x4cf5ad432745937f, v[6:7]
	v_xor_b32_e32 v3, v5, v3
	s_delay_alu instid0(VALU_DEP_2)
	v_xor_b32_e32 v2, v4, v2
.LBB0_35:
	s_or_b32 exec_lo, exec_lo, s0
	s_delay_alu instid0(VALU_DEP_1) | instskip(SKIP_1) | instid1(VALU_DEP_1)
	v_xor_b32_e32 v2, v2, v14
	v_dual_lshlrev_b32 v0, 1, v0 :: v_dual_bitop2_b32 v8, v8, v14 bitop3:0x14
	v_add_nc_u64_e32 v[2:3], v[2:3], v[8:9]
	s_delay_alu instid0(VALU_DEP_1) | instskip(SKIP_1) | instid1(VALU_DEP_1)
	v_add_nc_u64_e32 v[4:5], v[2:3], v[8:9]
	v_lshrrev_b32_e32 v1, 1, v3
	v_dual_lshrrev_b32 v6, 1, v5 :: v_dual_bitop2_b32 v2, v1, v2 bitop3:0x14
	s_delay_alu instid0(VALU_DEP_1) | instskip(NEXT) | instid1(VALU_DEP_2)
	v_mul_u64_e32 v[2:3], 0xff51afd7ed558ccd, v[2:3]
	v_xor_b32_e32 v4, v6, v4
	s_delay_alu instid0(VALU_DEP_1) | instskip(NEXT) | instid1(VALU_DEP_3)
	v_mul_u64_e32 v[4:5], 0xff51afd7ed558ccd, v[4:5]
	v_lshrrev_b32_e32 v1, 1, v3
	s_delay_alu instid0(VALU_DEP_1) | instskip(NEXT) | instid1(VALU_DEP_1)
	v_dual_lshrrev_b32 v6, 1, v5 :: v_dual_bitop2_b32 v2, v1, v2 bitop3:0x14
	v_mul_u64_e32 v[2:3], 0xc4ceb9fe1a85ec53, v[2:3]
	s_delay_alu instid0(VALU_DEP_2) | instskip(NEXT) | instid1(VALU_DEP_1)
	v_xor_b32_e32 v4, v6, v4
	v_mul_u64_e32 v[4:5], 0xc4ceb9fe1a85ec53, v[4:5]
	s_delay_alu instid0(VALU_DEP_3) | instskip(NEXT) | instid1(VALU_DEP_1)
	v_lshrrev_b32_e32 v1, 1, v3
	v_dual_lshrrev_b32 v6, 1, v5 :: v_dual_bitop2_b32 v2, v1, v2 bitop3:0x14
	s_delay_alu instid0(VALU_DEP_1) | instskip(NEXT) | instid1(VALU_DEP_1)
	v_dual_mov_b32 v1, 0 :: v_dual_bitop2_b32 v4, v6, v4 bitop3:0x14
	v_lshl_add_u64 v[0:1], v[0:1], 3, s[10:11]
	s_delay_alu instid0(VALU_DEP_2) | instskip(NEXT) | instid1(VALU_DEP_1)
	v_add_nc_u64_e32 v[2:3], v[4:5], v[2:3]
	v_add_nc_u64_e32 v[4:5], v[2:3], v[4:5]
	global_store_b128 v[0:1], v[2:5], off
.LBB0_36:
	s_endpgm
.LBB0_37:
	global_load_u8 v10, v[6:7], off offset:5
	s_mov_b32 s2, exec_lo
	s_wait_loadcnt 0x0
	v_lshlrev_b32_e32 v10, 8, v10
	s_delay_alu instid0(VALU_DEP_1)
	v_xor_b32_e32 v13, v10, v13
	s_or_b32 exec_lo, exec_lo, s0
	s_and_saveexec_b32 s0, s4
	s_cbranch_execz .LBB0_25
.LBB0_38:
	v_cmp_lt_i32_e32 vcc_lo, 4, v1
	v_mov_b64_e32 v[12:13], 0
	v_mov_b64_e32 v[8:9], v[4:5]
	s_and_not1_b32 s2, s2, exec_lo
	s_mov_b32 s3, exec_lo
	s_and_b32 s4, vcc_lo, exec_lo
	s_delay_alu instid0(SALU_CYCLE_1)
	s_or_b32 s2, s2, s4
	s_or_b32 exec_lo, exec_lo, s0
	v_mov_b64_e32 v[10:11], 0
	s_and_saveexec_b32 s0, s2
	s_cbranch_execnz .LBB0_26
	s_branch .LBB0_27
.LBB0_39:
	global_load_u8 v12, v[6:7], off offset:3
	s_mov_b32 s2, exec_lo
	s_wait_loadcnt 0x0
	v_lshlrev_b32_e32 v12, 24, v12
	s_delay_alu instid0(VALU_DEP_1)
	v_xor_b32_e32 v10, v12, v10
	s_or_b32 exec_lo, exec_lo, s0
	s_mov_b32 s0, 0
	s_and_saveexec_b32 s3, s1
	s_cbranch_execz .LBB0_29
.LBB0_40:
	s_mov_b32 s1, 0
	s_mov_b32 s0, -1
	s_mov_b32 s4, s2
	s_mov_b32 s5, exec_lo
	v_cmpx_lt_i32_e32 1, v1
; %bb.41:
	v_cmp_lt_i32_e32 vcc_lo, 2, v1
	s_and_not1_b32 s4, s2, exec_lo
	s_mov_b32 s1, exec_lo
	s_xor_b32 s0, exec_lo, -1
	s_and_b32 s6, vcc_lo, exec_lo
	s_delay_alu instid0(SALU_CYCLE_1)
	s_or_b32 s4, s4, s6
; %bb.42:
	s_or_b32 exec_lo, exec_lo, s5
	v_mov_b64_e32 v[10:11], 0
	v_mov_b64_e32 v[8:9], v[4:5]
	s_and_not1_b32 s2, s2, exec_lo
	s_and_b32 s5, s4, exec_lo
	s_and_b32 s0, s0, exec_lo
	;; [unrolled: 1-line block ×3, first 2 shown]
	s_or_b32 s2, s2, s5
	s_or_b32 exec_lo, exec_lo, s3
	v_mov_b64_e32 v[12:13], 0
	s_and_saveexec_b32 s1, s2
	s_cbranch_execnz .LBB0_30
	s_branch .LBB0_31
.LBB0_43:
	global_load_u8 v10, v[6:7], off offset:1
	s_mov_b32 s1, exec_lo
	s_wait_loadcnt 0x0
	v_lshlrev_b32_e32 v10, 8, v10
	s_delay_alu instid0(VALU_DEP_1)
	v_xor_b32_e32 v12, v10, v12
	s_or_b32 exec_lo, exec_lo, s2
	s_and_saveexec_b32 s2, s0
	s_cbranch_execz .LBB0_33
.LBB0_44:
	v_cmp_eq_u32_e32 vcc_lo, 1, v1
	v_mov_b64_e32 v[12:13], 0
	v_mov_b64_e32 v[8:9], v[4:5]
	s_and_not1_b32 s0, s1, exec_lo
	s_and_b32 s1, vcc_lo, exec_lo
	s_delay_alu instid0(SALU_CYCLE_1)
	s_or_b32 s1, s0, s1
	s_or_b32 exec_lo, exec_lo, s2
	s_and_saveexec_b32 s0, s1
	s_cbranch_execnz .LBB0_34
	s_branch .LBB0_35
.LBB0_45:
	s_mov_b32 s5, exec_lo
                                        ; implicit-def: $vgpr10_vgpr11
	v_cmpx_lt_i32_e32 13, v1
	s_xor_b32 s5, exec_lo, s5
	s_cbranch_execnz .LBB0_55
; %bb.46:
	s_and_not1_saveexec_b32 s5, s5
	s_cbranch_execnz .LBB0_58
.LBB0_47:
	s_or_b32 exec_lo, exec_lo, s5
	v_mov_b64_e32 v[8:9], 0
	s_and_saveexec_b32 s5, s4
	s_cbranch_execz .LBB0_49
.LBB0_48:
	global_load_u8 v8, v[6:7], off offset:12
	s_wait_loadcnt 0x0
	v_xor_b32_e32 v11, v8, v11
	s_delay_alu instid0(VALU_DEP_1)
	v_mov_b64_e32 v[8:9], v[10:11]
.LBB0_49:
	s_or_b32 exec_lo, exec_lo, s5
	global_load_u8 v10, v[6:7], off offset:11
	s_mov_b32 s4, exec_lo
	s_wait_loadcnt 0x0
	v_lshlrev_b32_e32 v10, 24, v10
	s_delay_alu instid0(VALU_DEP_1)
	v_xor_b32_e32 v8, v10, v8
	s_or_saveexec_b32 s5, s3
	s_mov_b32 s3, 0
	s_xor_b32 exec_lo, exec_lo, s5
	s_cbranch_execz .LBB0_8
.LBB0_50:
	s_mov_b32 s3, -1
	s_mov_b32 s6, s4
	s_mov_b32 s7, exec_lo
	v_cmpx_lt_i32_e32 9, v1
; %bb.51:
	v_cmp_lt_i32_e32 vcc_lo, 10, v1
	s_and_not1_b32 s6, s4, exec_lo
	s_mov_b32 s2, exec_lo
	s_xor_b32 s3, exec_lo, -1
	s_and_b32 s8, vcc_lo, exec_lo
	s_delay_alu instid0(SALU_CYCLE_1)
	s_or_b32 s6, s6, s8
; %bb.52:
	s_or_b32 exec_lo, exec_lo, s7
	v_mov_b64_e32 v[8:9], 0
	s_and_not1_b32 s4, s4, exec_lo
	s_and_b32 s6, s6, exec_lo
	s_and_b32 s3, s3, exec_lo
	;; [unrolled: 1-line block ×3, first 2 shown]
	s_or_b32 s4, s4, s6
	s_or_b32 exec_lo, exec_lo, s5
	v_mov_b64_e32 v[10:11], 0
	s_and_saveexec_b32 s5, s4
	s_cbranch_execnz .LBB0_9
	s_branch .LBB0_10
.LBB0_53:
	global_load_u8 v8, v[6:7], off offset:9
	s_mov_b32 s4, exec_lo
	s_wait_loadcnt 0x0
	v_lshlrev_b32_e32 v8, 8, v8
	s_delay_alu instid0(VALU_DEP_1)
	v_xor_b32_e32 v10, v8, v10
	s_or_b32 exec_lo, exec_lo, s2
	s_and_saveexec_b32 s2, s3
	s_cbranch_execz .LBB0_12
.LBB0_54:
	v_cmp_lt_i32_e32 vcc_lo, 8, v1
	v_mov_b64_e32 v[10:11], 0
	s_and_not1_b32 s3, s4, exec_lo
	s_and_b32 s4, vcc_lo, exec_lo
	s_delay_alu instid0(SALU_CYCLE_1)
	s_or_b32 s4, s3, s4
	s_or_b32 exec_lo, exec_lo, s2
	v_mov_b64_e32 v[8:9], v[4:5]
	s_and_saveexec_b32 s2, s4
	s_cbranch_execnz .LBB0_13
	s_branch .LBB0_14
.LBB0_55:
	v_mov_b64_e32 v[10:11], 0
	s_mov_b32 s4, exec_lo
	v_cmpx_lt_i32_e32 14, v1
	s_cbranch_execz .LBB0_57
; %bb.56:
	global_load_u8 v8, v[6:7], off offset:14
	s_wait_loadcnt 0x0
	v_dual_mov_b32 v10, 0 :: v_dual_lshlrev_b32 v11, 16, v8
.LBB0_57:
	s_or_b32 exec_lo, exec_lo, s4
	global_load_u8 v8, v[6:7], off offset:13
	s_mov_b32 s4, exec_lo
	s_wait_loadcnt 0x0
	v_lshlrev_b32_e32 v8, 8, v8
	s_delay_alu instid0(VALU_DEP_1)
	v_or_b32_e32 v11, v8, v11
	s_and_not1_saveexec_b32 s5, s5
	s_cbranch_execz .LBB0_47
.LBB0_58:
	v_cmp_lt_i32_e32 vcc_lo, 12, v1
	v_mov_b64_e32 v[10:11], 0
	s_and_not1_b32 s4, s4, exec_lo
	s_and_b32 s6, vcc_lo, exec_lo
	s_delay_alu instid0(SALU_CYCLE_1)
	s_or_b32 s4, s4, s6
	s_or_b32 exec_lo, exec_lo, s5
	v_mov_b64_e32 v[8:9], 0
	s_and_saveexec_b32 s5, s4
	s_cbranch_execnz .LBB0_48
	s_branch .LBB0_49
	.section	.rodata,"a",@progbits
	.p2align	6, 0x0
	.amdhsa_kernel _Z26MurmurHash3_x64_128_kernelPKhPKjS2_Pmj
		.amdhsa_group_segment_fixed_size 0
		.amdhsa_private_segment_fixed_size 0
		.amdhsa_kernarg_size 296
		.amdhsa_user_sgpr_count 2
		.amdhsa_user_sgpr_dispatch_ptr 0
		.amdhsa_user_sgpr_queue_ptr 0
		.amdhsa_user_sgpr_kernarg_segment_ptr 1
		.amdhsa_user_sgpr_dispatch_id 0
		.amdhsa_user_sgpr_kernarg_preload_length 0
		.amdhsa_user_sgpr_kernarg_preload_offset 0
		.amdhsa_user_sgpr_private_segment_size 0
		.amdhsa_wavefront_size32 1
		.amdhsa_uses_dynamic_stack 0
		.amdhsa_enable_private_segment 0
		.amdhsa_system_sgpr_workgroup_id_x 1
		.amdhsa_system_sgpr_workgroup_id_y 0
		.amdhsa_system_sgpr_workgroup_id_z 0
		.amdhsa_system_sgpr_workgroup_info 0
		.amdhsa_system_vgpr_workitem_id 0
		.amdhsa_next_free_vgpr 22
		.amdhsa_next_free_sgpr 12
		.amdhsa_named_barrier_count 0
		.amdhsa_reserve_vcc 1
		.amdhsa_float_round_mode_32 0
		.amdhsa_float_round_mode_16_64 0
		.amdhsa_float_denorm_mode_32 3
		.amdhsa_float_denorm_mode_16_64 3
		.amdhsa_fp16_overflow 0
		.amdhsa_memory_ordered 1
		.amdhsa_forward_progress 1
		.amdhsa_inst_pref_size 20
		.amdhsa_round_robin_scheduling 0
		.amdhsa_exception_fp_ieee_invalid_op 0
		.amdhsa_exception_fp_denorm_src 0
		.amdhsa_exception_fp_ieee_div_zero 0
		.amdhsa_exception_fp_ieee_overflow 0
		.amdhsa_exception_fp_ieee_underflow 0
		.amdhsa_exception_fp_ieee_inexact 0
		.amdhsa_exception_int_div_zero 0
	.end_amdhsa_kernel
	.text
.Lfunc_end0:
	.size	_Z26MurmurHash3_x64_128_kernelPKhPKjS2_Pmj, .Lfunc_end0-_Z26MurmurHash3_x64_128_kernelPKhPKjS2_Pmj
                                        ; -- End function
	.set _Z26MurmurHash3_x64_128_kernelPKhPKjS2_Pmj.num_vgpr, 22
	.set _Z26MurmurHash3_x64_128_kernelPKhPKjS2_Pmj.num_agpr, 0
	.set _Z26MurmurHash3_x64_128_kernelPKhPKjS2_Pmj.numbered_sgpr, 12
	.set _Z26MurmurHash3_x64_128_kernelPKhPKjS2_Pmj.num_named_barrier, 0
	.set _Z26MurmurHash3_x64_128_kernelPKhPKjS2_Pmj.private_seg_size, 0
	.set _Z26MurmurHash3_x64_128_kernelPKhPKjS2_Pmj.uses_vcc, 1
	.set _Z26MurmurHash3_x64_128_kernelPKhPKjS2_Pmj.uses_flat_scratch, 0
	.set _Z26MurmurHash3_x64_128_kernelPKhPKjS2_Pmj.has_dyn_sized_stack, 0
	.set _Z26MurmurHash3_x64_128_kernelPKhPKjS2_Pmj.has_recursion, 0
	.set _Z26MurmurHash3_x64_128_kernelPKhPKjS2_Pmj.has_indirect_call, 0
	.section	.AMDGPU.csdata,"",@progbits
; Kernel info:
; codeLenInByte = 2488
; TotalNumSgprs: 14
; NumVgprs: 22
; ScratchSize: 0
; MemoryBound: 0
; FloatMode: 240
; IeeeMode: 1
; LDSByteSize: 0 bytes/workgroup (compile time only)
; SGPRBlocks: 0
; VGPRBlocks: 1
; NumSGPRsForWavesPerEU: 14
; NumVGPRsForWavesPerEU: 22
; NamedBarCnt: 0
; Occupancy: 16
; WaveLimiterHint : 1
; COMPUTE_PGM_RSRC2:SCRATCH_EN: 0
; COMPUTE_PGM_RSRC2:USER_SGPR: 2
; COMPUTE_PGM_RSRC2:TRAP_HANDLER: 0
; COMPUTE_PGM_RSRC2:TGID_X_EN: 1
; COMPUTE_PGM_RSRC2:TGID_Y_EN: 0
; COMPUTE_PGM_RSRC2:TGID_Z_EN: 0
; COMPUTE_PGM_RSRC2:TIDIG_COMP_CNT: 0
	.text
	.p2alignl 7, 3214868480
	.fill 96, 4, 3214868480
	.section	.AMDGPU.gpr_maximums,"",@progbits
	.set amdgpu.max_num_vgpr, 0
	.set amdgpu.max_num_agpr, 0
	.set amdgpu.max_num_sgpr, 0
	.text
	.type	__hip_cuid_7b6449e29fdf7d95,@object ; @__hip_cuid_7b6449e29fdf7d95
	.section	.bss,"aw",@nobits
	.globl	__hip_cuid_7b6449e29fdf7d95
__hip_cuid_7b6449e29fdf7d95:
	.byte	0                               ; 0x0
	.size	__hip_cuid_7b6449e29fdf7d95, 1

	.ident	"AMD clang version 22.0.0git (https://github.com/RadeonOpenCompute/llvm-project roc-7.2.4 26084 f58b06dce1f9c15707c5f808fd002e18c2accf7e)"
	.section	".note.GNU-stack","",@progbits
	.addrsig
	.addrsig_sym __hip_cuid_7b6449e29fdf7d95
	.amdgpu_metadata
---
amdhsa.kernels:
  - .args:
      - .actual_access:  read_only
        .address_space:  global
        .offset:         0
        .size:           8
        .value_kind:     global_buffer
      - .actual_access:  read_only
        .address_space:  global
        .offset:         8
        .size:           8
        .value_kind:     global_buffer
      - .actual_access:  read_only
        .address_space:  global
        .offset:         16
        .size:           8
        .value_kind:     global_buffer
      - .actual_access:  write_only
        .address_space:  global
        .offset:         24
        .size:           8
        .value_kind:     global_buffer
      - .offset:         32
        .size:           4
        .value_kind:     by_value
      - .offset:         40
        .size:           4
        .value_kind:     hidden_block_count_x
      - .offset:         44
        .size:           4
        .value_kind:     hidden_block_count_y
      - .offset:         48
        .size:           4
        .value_kind:     hidden_block_count_z
      - .offset:         52
        .size:           2
        .value_kind:     hidden_group_size_x
      - .offset:         54
        .size:           2
        .value_kind:     hidden_group_size_y
      - .offset:         56
        .size:           2
        .value_kind:     hidden_group_size_z
      - .offset:         58
        .size:           2
        .value_kind:     hidden_remainder_x
      - .offset:         60
        .size:           2
        .value_kind:     hidden_remainder_y
      - .offset:         62
        .size:           2
        .value_kind:     hidden_remainder_z
      - .offset:         80
        .size:           8
        .value_kind:     hidden_global_offset_x
      - .offset:         88
        .size:           8
        .value_kind:     hidden_global_offset_y
      - .offset:         96
        .size:           8
        .value_kind:     hidden_global_offset_z
      - .offset:         104
        .size:           2
        .value_kind:     hidden_grid_dims
    .group_segment_fixed_size: 0
    .kernarg_segment_align: 8
    .kernarg_segment_size: 296
    .language:       OpenCL C
    .language_version:
      - 2
      - 0
    .max_flat_workgroup_size: 1024
    .name:           _Z26MurmurHash3_x64_128_kernelPKhPKjS2_Pmj
    .private_segment_fixed_size: 0
    .sgpr_count:     14
    .sgpr_spill_count: 0
    .symbol:         _Z26MurmurHash3_x64_128_kernelPKhPKjS2_Pmj.kd
    .uniform_work_group_size: 1
    .uses_dynamic_stack: false
    .vgpr_count:     22
    .vgpr_spill_count: 0
    .wavefront_size: 32
amdhsa.target:   amdgcn-amd-amdhsa--gfx1250
amdhsa.version:
  - 1
  - 2
...

	.end_amdgpu_metadata
